;; amdgpu-corpus repo=ROCm/rocFFT kind=compiled arch=gfx1030 opt=O3
	.text
	.amdgcn_target "amdgcn-amd-amdhsa--gfx1030"
	.amdhsa_code_object_version 6
	.protected	fft_rtc_fwd_len17_factors_17_wgs_120_tpt_1_sp_op_CI_CI_sbrc_z_xy_diag ; -- Begin function fft_rtc_fwd_len17_factors_17_wgs_120_tpt_1_sp_op_CI_CI_sbrc_z_xy_diag
	.globl	fft_rtc_fwd_len17_factors_17_wgs_120_tpt_1_sp_op_CI_CI_sbrc_z_xy_diag
	.p2align	8
	.type	fft_rtc_fwd_len17_factors_17_wgs_120_tpt_1_sp_op_CI_CI_sbrc_z_xy_diag,@function
fft_rtc_fwd_len17_factors_17_wgs_120_tpt_1_sp_op_CI_CI_sbrc_z_xy_diag: ; @fft_rtc_fwd_len17_factors_17_wgs_120_tpt_1_sp_op_CI_CI_sbrc_z_xy_diag
; %bb.0:
	s_clause 0x1
	s_load_dwordx8 s[8:15], s[4:5], 0x8
	s_load_dwordx4 s[0:3], s[4:5], 0x58
	v_add_nc_u32_e32 v8, 0x168, v0
	v_add_nc_u32_e32 v2, 0x78, v0
	v_mul_u32_u24_e32 v1, 0xf10, v0
	v_add_nc_u32_e32 v7, 0xf0, v0
	v_add_nc_u32_e32 v9, 0x1e0, v0
	v_mul_u32_u24_e32 v12, 0xf10, v8
	v_add_nc_u32_e32 v10, 0x258, v0
	v_mul_u32_u24_e32 v5, 0xf10, v2
	v_add_nc_u32_e32 v11, 0x2d0, v0
	v_lshrrev_b32_e32 v1, 16, v1
	v_lshrrev_b32_e32 v32, 16, v12
	v_mul_u32_u24_e32 v6, 0xf10, v7
	v_mul_u32_u24_e32 v13, 0xf10, v9
	;; [unrolled: 1-line block ×3, first 2 shown]
	v_lshrrev_b32_e32 v21, 16, v5
	v_mul_u32_u24_e32 v15, 0xf10, v11
	v_mul_lo_u16 v16, v1, 17
	v_lshrrev_b32_e32 v31, 16, v6
	s_waitcnt lgkmcnt(0)
	s_load_dwordx4 s[16:19], s[10:11], 0x8
	s_load_dword s10, s[12:13], 0x10
	v_lshrrev_b32_e32 v6, 16, v13
	v_lshrrev_b32_e32 v5, 16, v14
	v_mul_lo_u16 v14, v21, 17
	v_sub_nc_u16 v13, v0, v16
	v_mul_lo_u16 v16, v32, 17
	v_mul_lo_u16 v17, v6, 17
	v_mov_b32_e32 v28, 0
	v_sub_nc_u16 v2, v2, v14
	v_and_b32_e32 v22, 0xffff, v13
	v_sub_nc_u16 v8, v8, v16
	v_sub_nc_u16 v9, v9, v17
	s_mov_b32 s11, 0
	v_and_b32_e32 v23, 0xffff, v2
	v_add_nc_u32_e32 v4, 0x348, v0
	v_and_b32_e32 v25, 0xffff, v8
	v_and_b32_e32 v26, 0xffff, v9
	v_add_nc_u32_e32 v33, 0x5a0, v0
	v_add_nc_u32_e32 v36, 0x618, v0
	s_waitcnt lgkmcnt(0)
	s_add_i32 s4, s16, -1
	v_or_b32_e32 v38, 0x780, v0
	s_mul_hi_u32 s4, s4, 0x88888889
	s_lshr_b32 s4, s4, 6
	s_add_i32 s4, s4, 1
	s_mul_i32 s4, s4, s18
	v_cvt_f32_u32_e32 v3, s4
	s_sub_i32 s7, 0, s4
	v_rcp_iflag_f32_e32 v3, v3
	v_mul_f32_e32 v12, 0x4f7ffffe, v3
	v_lshrrev_b32_e32 v3, 16, v15
	v_mul_lo_u16 v15, v31, 17
	v_cvt_u32_f32_e32 v12, v12
	v_mul_lo_u16 v18, v3, 17
	v_sub_nc_u16 v13, v7, v15
	v_readfirstlane_b32 s5, v12
	v_mul_lo_u16 v12, v5, 17
	v_and_b32_e32 v24, 0xffff, v13
	v_sub_nc_u16 v7, v11, v18
	s_mul_i32 s7, s7, s5
	v_sub_nc_u16 v10, v10, v12
	s_mul_hi_u32 s7, s5, s7
	s_add_i32 s5, s5, s7
	v_and_b32_e32 v8, 0xffff, v10
	s_mul_hi_u32 s5, s6, s5
	s_mul_i32 s7, s5, s4
	s_add_i32 s16, s5, 1
	s_sub_i32 s7, s6, s7
	s_sub_i32 s17, s7, s4
	s_cmp_ge_u32 s7, s4
	s_cselect_b32 s5, s16, s5
	s_cselect_b32 s7, s17, s7
	s_add_i32 s20, s5, 1
	s_cmp_ge_u32 s7, s4
	s_load_dwordx4 s[16:19], s[12:13], 0x0
	s_waitcnt lgkmcnt(0)
	s_cselect_b32 s19, s20, s5
	s_mul_i32 s4, s19, s4
	s_sub_i32 s6, s6, s4
	s_mul_hi_u32 s4, s6, 0xf0f0f0f1
	s_lshr_b32 s4, s4, 4
	s_mul_i32 s7, s4, 17
	s_lshl_b64 s[4:5], s[8:9], 3
	s_sub_i32 s20, s6, s7
	s_add_u32 s6, s12, s4
	s_addc_u32 s7, s13, s5
	s_load_dwordx2 s[6:7], s[6:7], 0x0
	s_mul_i32 s10, s20, s10
	v_mad_u64_u32 v[9:10], null, s16, v22, 0
	v_mul_lo_u32 v27, s18, v1
	v_mad_u64_u32 v[11:12], null, s16, v23, 0
	v_mad_u64_u32 v[13:14], null, s16, v24, 0
	;; [unrolled: 1-line block ×4, first 2 shown]
	v_lshlrev_b64 v[19:20], 3, v[27:28]
	v_mul_lo_u32 v27, s18, v21
	v_mad_u64_u32 v[21:22], null, s17, v22, v[10:11]
	v_mad_u64_u32 v[22:23], null, s17, v23, v[12:13]
	s_waitcnt lgkmcnt(0)
	s_mul_i32 s7, s7, s19
	s_mul_hi_u32 s8, s6, s19
	v_mad_u64_u32 v[23:24], null, s17, v24, v[14:15]
	s_add_i32 s7, s8, s7
	s_add_u32 s4, s14, s4
	s_addc_u32 s5, s15, s5
	s_mul_i32 s6, s6, s19
	s_load_dwordx2 s[8:9], s[4:5], 0x0
	v_mov_b32_e32 v10, v21
	v_mad_u64_u32 v[24:25], null, s17, v25, v[16:17]
	s_lshl_b64 s[12:13], s[6:7], 3
	s_load_dwordx4 s[4:7], s[14:15], 0x0
	v_mov_b32_e32 v12, v22
	v_lshlrev_b64 v[9:10], 3, v[9:10]
	v_mov_b32_e32 v14, v23
	v_lshlrev_b64 v[29:30], 3, v[27:28]
	;; [unrolled: 2-line block ×3, first 2 shown]
	v_mul_lo_u32 v27, s18, v31
	v_lshlrev_b64 v[13:14], 3, v[13:14]
	v_mad_u64_u32 v[25:26], null, s17, v26, v[18:19]
	v_lshlrev_b64 v[15:16], 3, v[15:16]
	v_mad_u64_u32 v[1:2], null, s16, v8, 0
	s_waitcnt lgkmcnt(0)
	s_mul_i32 s7, s9, s19
	s_mul_hi_u32 s9, s8, s19
	v_lshlrev_b64 v[21:22], 3, v[27:28]
	s_add_i32 s7, s9, s7
	s_add_u32 s9, s0, s12
	s_addc_u32 s12, s1, s13
	s_lshl_b64 s[0:1], s[10:11], 3
	v_mul_lo_u32 v27, s18, v32
	s_add_u32 s0, s9, s0
	s_addc_u32 s1, s12, s1
	v_add_co_u32 v9, vcc_lo, s0, v9
	v_add_co_ci_u32_e32 v10, vcc_lo, s1, v10, vcc_lo
	v_add_co_u32 v11, vcc_lo, s0, v11
	v_add_co_ci_u32_e32 v12, vcc_lo, s1, v12, vcc_lo
	;; [unrolled: 2-line block ×5, first 2 shown]
	v_lshlrev_b64 v[23:24], 3, v[27:28]
	v_add_co_u32 v11, vcc_lo, v11, v29
	v_mul_lo_u32 v27, s18, v6
	v_mul_u32_u24_e32 v6, 0xf10, v4
	v_mov_b32_e32 v18, v25
	v_add_co_ci_u32_e32 v12, vcc_lo, v12, v30, vcc_lo
	v_add_co_u32 v13, vcc_lo, v13, v21
	v_add_co_ci_u32_e32 v14, vcc_lo, v14, v22, vcc_lo
	v_add_co_u32 v15, vcc_lo, v15, v23
	v_lshrrev_b32_e32 v23, 16, v6
	v_lshlrev_b64 v[17:18], 3, v[17:18]
	v_mad_u64_u32 v[19:20], null, s17, v8, v[2:3]
	v_and_b32_e32 v8, 0xffff, v7
	v_mul_lo_u16 v22, v23, 17
	v_add_co_ci_u32_e32 v16, vcc_lo, v16, v24, vcc_lo
	v_add_co_u32 v20, vcc_lo, s0, v17
	v_add_co_ci_u32_e32 v21, vcc_lo, s1, v18, vcc_lo
	v_mad_u64_u32 v[17:18], null, s16, v8, 0
	v_mov_b32_e32 v2, v19
	v_sub_nc_u16 v19, v4, v22
	v_lshlrev_b64 v[6:7], 3, v[27:28]
	v_mul_lo_u32 v27, s18, v5
	v_add_nc_u32_e32 v25, 0x3c0, v0
	v_lshlrev_b64 v[1:2], 3, v[1:2]
	v_and_b32_e32 v24, 0xffff, v19
	v_mov_b32_e32 v4, v18
	v_add_co_u32 v6, vcc_lo, v20, v6
	v_add_co_ci_u32_e32 v7, vcc_lo, v21, v7, vcc_lo
	v_mad_u64_u32 v[19:20], null, s16, v24, 0
	v_mad_u64_u32 v[4:5], null, s17, v8, v[4:5]
	v_mul_u32_u24_e32 v5, 0xf10, v25
	v_lshlrev_b64 v[21:22], 3, v[27:28]
	v_add_co_u32 v8, vcc_lo, s0, v1
	v_add_co_ci_u32_e32 v2, vcc_lo, s1, v2, vcc_lo
	v_mov_b32_e32 v1, v20
	v_lshrrev_b32_e32 v26, 16, v5
	v_mov_b32_e32 v18, v4
	v_add_co_u32 v4, vcc_lo, v8, v21
	v_add_co_ci_u32_e32 v5, vcc_lo, v2, v22, vcc_lo
	v_mul_lo_u16 v8, v26, 17
	v_mad_u64_u32 v[1:2], null, s17, v24, v[1:2]
	v_mul_lo_u32 v27, s18, v3
	v_lshlrev_b64 v[17:18], 3, v[17:18]
	v_sub_nc_u16 v3, v25, v8
	v_add_nc_u32_e32 v8, 0x438, v0
	s_clause 0x3
	global_load_dwordx2 v[9:10], v[9:10], off
	global_load_dwordx2 v[11:12], v[11:12], off
	;; [unrolled: 1-line block ×4, first 2 shown]
	v_add_nc_u32_e32 v29, 0x4b0, v0
	v_mov_b32_e32 v20, v1
	v_and_b32_e32 v24, 0xffff, v3
	v_lshlrev_b64 v[1:2], 3, v[27:28]
	v_mul_lo_u32 v27, s18, v23
	v_add_co_u32 v21, vcc_lo, s0, v17
	v_add_co_ci_u32_e32 v22, vcc_lo, s1, v18, vcc_lo
	v_lshlrev_b64 v[17:18], 3, v[19:20]
	v_mad_u64_u32 v[19:20], null, s16, v24, 0
	v_add_co_u32 v1, vcc_lo, v21, v1
	v_mul_u32_u24_e32 v3, 0xf10, v8
	v_add_co_ci_u32_e32 v2, vcc_lo, v22, v2, vcc_lo
	v_lshlrev_b64 v[21:22], 3, v[27:28]
	v_add_co_u32 v17, vcc_lo, s0, v17
	v_add_co_ci_u32_e32 v18, vcc_lo, s1, v18, vcc_lo
	v_lshrrev_b32_e32 v25, 16, v3
	v_mov_b32_e32 v3, v20
	v_add_co_u32 v17, vcc_lo, v17, v21
	v_add_co_ci_u32_e32 v18, vcc_lo, v18, v22, vcc_lo
	v_mad_u64_u32 v[20:21], null, s17, v24, v[3:4]
	s_clause 0x3
	global_load_dwordx2 v[6:7], v[6:7], off
	global_load_dwordx2 v[3:4], v[4:5], off
	;; [unrolled: 1-line block ×4, first 2 shown]
	v_mul_lo_u16 v23, v25, 17
	v_mul_lo_u32 v27, s18, v26
	v_add_nc_u32_e32 v26, 0x528, v0
	s_mul_i32 s10, s20, s6
	s_mul_i32 s6, s8, s19
	v_sub_nc_u16 v8, v8, v23
	v_mul_u32_u24_e32 v23, 0xf10, v29
	v_lshlrev_b64 v[19:20], 3, v[19:20]
	v_and_b32_e32 v8, 0xffff, v8
	v_lshrrev_b32_e32 v32, 16, v23
	v_mad_u64_u32 v[21:22], null, s16, v8, 0
	v_mul_lo_u16 v24, v32, 17
	v_mov_b32_e32 v5, v22
	s_waitcnt vmcnt(3)
	v_mad_u64_u32 v[22:23], null, s17, v8, v[5:6]
	v_sub_nc_u16 v5, v29, v24
	v_mul_u32_u24_e32 v8, 0xf10, v26
	v_add_co_u32 v29, vcc_lo, s0, v19
	v_add_co_ci_u32_e32 v30, vcc_lo, s1, v20, vcc_lo
	v_and_b32_e32 v31, 0xffff, v5
	v_lshrrev_b32_e32 v8, 16, v8
	v_lshlrev_b64 v[19:20], 3, v[27:28]
	v_mul_lo_u32 v27, s18, v25
	v_lshlrev_b64 v[21:22], 3, v[21:22]
	v_mad_u64_u32 v[23:24], null, s16, v31, 0
	v_mul_lo_u16 v5, v8, 17
	v_add_co_u32 v19, vcc_lo, v29, v19
	v_add_co_ci_u32_e32 v20, vcc_lo, v30, v20, vcc_lo
	v_sub_nc_u16 v29, v26, v5
	v_mov_b32_e32 v5, v24
	v_mul_u32_u24_e32 v24, 0xf10, v33
	v_lshlrev_b64 v[25:26], 3, v[27:28]
	v_and_b32_e32 v34, 0xffff, v29
	v_mad_u64_u32 v[29:30], null, s17, v31, v[5:6]
	v_lshrrev_b32_e32 v35, 16, v24
	v_add_co_u32 v5, vcc_lo, s0, v21
	v_mad_u64_u32 v[30:31], null, s16, v34, 0
	v_mul_lo_u16 v27, v35, 17
	v_add_co_ci_u32_e32 v22, vcc_lo, s1, v22, vcc_lo
	v_mov_b32_e32 v24, v29
	v_add_co_u32 v21, vcc_lo, v5, v25
	v_mov_b32_e32 v5, v31
	v_sub_nc_u16 v29, v33, v27
	v_mul_lo_u32 v27, s18, v32
	v_lshlrev_b64 v[23:24], 3, v[23:24]
	v_add_co_ci_u32_e32 v22, vcc_lo, v22, v26, vcc_lo
	v_mad_u64_u32 v[25:26], null, s17, v34, v[5:6]
	v_and_b32_e32 v34, 0xffff, v29
	v_mul_u32_u24_e32 v29, 0xf10, v36
	v_add_co_u32 v5, vcc_lo, s0, v23
	v_add_co_ci_u32_e32 v26, vcc_lo, s1, v24, vcc_lo
	v_mad_u64_u32 v[32:33], null, s16, v34, 0
	v_lshlrev_b64 v[23:24], 3, v[27:28]
	v_mul_lo_u32 v27, s18, v8
	v_lshrrev_b32_e32 v8, 16, v29
	v_mov_b32_e32 v31, v25
	v_add_co_u32 v23, vcc_lo, v5, v23
	v_mov_b32_e32 v5, v33
	v_mul_lo_u16 v37, v8, 17
	v_add_co_ci_u32_e32 v24, vcc_lo, v26, v24, vcc_lo
	v_lshlrev_b64 v[25:26], 3, v[30:31]
	v_mad_u64_u32 v[33:34], null, s17, v34, v[5:6]
	v_sub_nc_u16 v5, v36, v37
	v_lshlrev_b64 v[29:30], 3, v[27:28]
	v_add_nc_u32_e32 v36, 0x690, v0
	v_add_co_u32 v25, vcc_lo, s0, v25
	v_add_co_ci_u32_e32 v26, vcc_lo, s1, v26, vcc_lo
	v_and_b32_e32 v34, 0xffff, v5
	v_add_co_u32 v25, vcc_lo, v25, v29
	v_mul_u32_u24_e32 v5, 0xf10, v36
	v_add_co_ci_u32_e32 v26, vcc_lo, v26, v30, vcc_lo
	v_mad_u64_u32 v[29:30], null, s16, v34, 0
	v_lshrrev_b32_e32 v40, 16, v5
	v_add_nc_u32_e32 v37, 0x708, v0
	v_mul_lo_u32 v27, s18, v35
	v_lshlrev_b64 v[31:32], 3, v[32:33]
	s_clause 0x3
	global_load_dwordx2 v[19:20], v[19:20], off
	global_load_dwordx2 v[21:22], v[21:22], off
	;; [unrolled: 1-line block ×4, first 2 shown]
	v_mov_b32_e32 v5, v30
	v_mul_lo_u16 v30, v40, 17
	v_mul_u32_u24_e32 v35, 0xf10, v37
	v_mad_u64_u32 v[33:34], null, s17, v34, v[5:6]
	v_sub_nc_u16 v5, v36, v30
	v_lshrrev_b32_e32 v44, 16, v35
	v_mul_u32_u24_e32 v30, 0xf10, v38
	v_add_co_u32 v35, vcc_lo, s0, v31
	v_and_b32_e32 v39, 0xffff, v5
	v_mul_lo_u16 v5, v44, 17
	v_lshrrev_b32_e32 v45, 16, v30
	v_add_co_ci_u32_e32 v36, vcc_lo, s1, v32, vcc_lo
	v_lshlrev_b64 v[31:32], 3, v[27:28]
	v_mov_b32_e32 v30, v33
	v_mad_u64_u32 v[33:34], null, s16, v39, 0
	v_sub_nc_u16 v5, v37, v5
	v_mul_lo_u16 v27, v45, 17
	v_add_co_u32 v31, vcc_lo, v35, v31
	v_add_co_ci_u32_e32 v32, vcc_lo, v36, v32, vcc_lo
	v_sub_nc_u16 v35, v38, v27
	v_mul_lo_u32 v27, s18, v8
	v_and_b32_e32 v8, 0xffff, v5
	v_mov_b32_e32 v5, v34
	v_lshlrev_b64 v[29:30], 3, v[29:30]
	v_and_b32_e32 v42, 0xffff, v35
	v_mad_u64_u32 v[35:36], null, s16, v8, 0
	v_mad_u64_u32 v[37:38], null, s17, v39, v[5:6]
	;; [unrolled: 1-line block ×3, first 2 shown]
	v_add_co_u32 v41, vcc_lo, s0, v29
	v_mov_b32_e32 v5, v36
	v_add_co_ci_u32_e32 v43, vcc_lo, s1, v30, vcc_lo
	v_lshlrev_b64 v[29:30], 3, v[27:28]
	v_mov_b32_e32 v34, v37
	v_mul_lo_u32 v27, s18, v40
	v_mad_u64_u32 v[36:37], null, s17, v8, v[5:6]
	v_mov_b32_e32 v5, v39
	v_add_co_u32 v29, vcc_lo, v41, v29
	v_lshlrev_b64 v[33:34], 3, v[33:34]
	v_add_co_ci_u32_e32 v30, vcc_lo, v43, v30, vcc_lo
	v_mad_u64_u32 v[42:43], null, s17, v42, v[5:6]
	v_lshlrev_b64 v[40:41], 3, v[27:28]
	v_mul_lo_u32 v27, s18, v44
	v_add_co_u32 v5, vcc_lo, s0, v33
	v_add_co_ci_u32_e32 v8, vcc_lo, s1, v34, vcc_lo
	v_mov_b32_e32 v39, v42
	v_lshlrev_b64 v[33:34], 3, v[35:36]
	v_add_co_u32 v35, vcc_lo, v5, v40
	v_add_co_ci_u32_e32 v36, vcc_lo, v8, v41, vcc_lo
	v_lshlrev_b64 v[40:41], 3, v[27:28]
	v_mul_lo_u32 v27, s18, v45
	v_lshlrev_b64 v[37:38], 3, v[38:39]
	v_add_co_u32 v5, vcc_lo, s0, v33
	v_add_co_ci_u32_e32 v8, vcc_lo, s1, v34, vcc_lo
	v_add_co_u32 v39, vcc_lo, s0, v37
	v_lshlrev_b64 v[33:34], 3, v[27:28]
	v_add_co_ci_u32_e32 v42, vcc_lo, s1, v38, vcc_lo
	v_add_co_u32 v37, vcc_lo, v5, v40
	v_add_co_ci_u32_e32 v38, vcc_lo, v8, v41, vcc_lo
	v_add_co_u32 v33, vcc_lo, v39, v33
	v_add_co_ci_u32_e32 v34, vcc_lo, v42, v34, vcc_lo
	s_clause 0x4
	global_load_dwordx2 v[39:40], v[31:32], off
	global_load_dwordx2 v[29:30], v[29:30], off
	;; [unrolled: 1-line block ×5, first 2 shown]
	v_mul_u32_u24_e32 v5, 0x223, v0
	s_load_dword s0, s[14:15], 0x10
	v_lshrrev_b32_e32 v32, 16, v5
	v_mul_lo_u16 v5, 0x78, v32
	v_sub_nc_u16 v34, v0, v5
	v_mov_b32_e32 v5, 3
	v_lshl_add_u32 v0, v0, 3, 0
	v_mul_lo_u16 v8, v34, 17
	v_and_b32_e32 v34, 0xffff, v34
	v_add_nc_u32_e32 v27, 0x400, v0
	v_add_nc_u32_e32 v43, 0xc00, v0
	;; [unrolled: 1-line block ×3, first 2 shown]
	v_lshlrev_b32_sdwa v31, v5, v8 dst_sel:DWORD dst_unused:UNUSED_PAD src0_sel:DWORD src1_sel:WORD_0
	v_add_nc_u32_e32 v45, 0x1c00, v0
	v_add_nc_u32_e32 v5, 0x2400, v0
	v_add_nc_u32_e32 v8, 0x2c00, v0
	v_add_nc_u32_e32 v46, 0x3400, v0
	v_add_nc_u32_e32 v33, 0, v31
	ds_write2_b64 v0, v[9:10], v[11:12] offset1:120
	ds_write2_b64 v27, v[13:14], v[15:16] offset0:112 offset1:232
	s_waitcnt vmcnt(11)
	ds_write2_b64 v43, v[6:7], v[3:4] offset0:96 offset1:216
	s_waitcnt vmcnt(9)
	;; [unrolled: 2-line block ×7, first 2 shown]
	ds_write_b64 v0, v[41:42] offset:15360
	s_waitcnt lgkmcnt(0)
	s_barrier
	buffer_gl0_inv
	ds_read2_b64 v[8:11], v33 offset1:1
	ds_read_b64 v[29:30], v33 offset:128
	ds_read2_b64 v[16:19], v33 offset0:6 offset1:7
	ds_read2_b64 v[12:15], v33 offset0:10 offset1:11
	;; [unrolled: 1-line block ×6, first 2 shown]
	s_waitcnt lgkmcnt(7)
	v_add_f32_e32 v35, v8, v10
	v_add_f32_e32 v36, v9, v11
	s_waitcnt lgkmcnt(6)
	v_add_f32_e32 v37, v29, v10
	v_sub_f32_e32 v42, v11, v30
	v_sub_f32_e32 v10, v10, v29
	s_waitcnt lgkmcnt(3)
	v_add_f32_e32 v35, v35, v4
	v_add_f32_e32 v36, v36, v5
	;; [unrolled: 1-line block ×3, first 2 shown]
	v_mul_f32_e32 v44, 0xbeb8f4ab, v42
	v_mul_f32_e32 v45, 0xbf2c7751, v42
	v_add_f32_e32 v35, v35, v6
	v_add_f32_e32 v36, v36, v7
	v_mul_f32_e32 v46, 0xbf65296c, v42
	v_mul_f32_e32 v47, 0xbf7ee86f, v42
	;; [unrolled: 1-line block ×14, first 2 shown]
	s_waitcnt lgkmcnt(2)
	v_add_f32_e32 v35, v35, v20
	v_add_f32_e32 v36, v36, v21
	v_fma_f32 v58, 0x3f6eb680, v37, -v44
	v_fmac_f32_e32 v44, 0x3f6eb680, v37
	v_fma_f32 v59, 0x3f3d2fb0, v37, -v45
	v_fmac_f32_e32 v45, 0x3f3d2fb0, v37
	;; [unrolled: 2-line block ×8, first 2 shown]
	v_fmamk_f32 v37, v11, 0x3f6eb680, v51
	v_fma_f32 v51, 0x3f6eb680, v11, -v51
	v_fmamk_f32 v66, v11, 0x3f3d2fb0, v52
	v_fma_f32 v52, 0x3f3d2fb0, v11, -v52
	v_fmamk_f32 v67, v11, 0x3ee437d1, v53
	v_fma_f32 v53, 0x3ee437d1, v11, -v53
	v_fmamk_f32 v68, v11, 0x3dbcf732, v54
	v_fma_f32 v54, 0x3dbcf732, v11, -v54
	v_fmamk_f32 v69, v11, 0xbe8c1d8e, v55
	v_fma_f32 v55, 0xbe8c1d8e, v11, -v55
	v_fmamk_f32 v70, v11, 0xbf1a4643, v56
	v_fma_f32 v56, 0xbf1a4643, v11, -v56
	v_fmamk_f32 v71, v11, 0xbf59a7d5, v57
	v_fma_f32 v57, 0xbf59a7d5, v11, -v57
	v_fmamk_f32 v72, v11, 0xbf7ba420, v10
	v_fma_f32 v11, 0xbf7ba420, v11, -v10
	v_add_f32_e32 v35, v35, v22
	v_add_f32_e32 v36, v36, v23
	v_sub_f32_e32 v40, v16, v14
	v_add_f32_e32 v39, v14, v16
	v_add_f32_e32 v73, v9, v11
	;; [unrolled: 1-line block ×4, first 2 shown]
	v_sub_f32_e32 v41, v19, v13
	v_add_f32_e32 v37, v9, v37
	v_add_f32_e32 v51, v9, v51
	;; [unrolled: 1-line block ×18, first 2 shown]
	v_sub_f32_e32 v43, v17, v15
	v_add_f32_e32 v38, v15, v17
	s_waitcnt lgkmcnt(0)
	v_add_f32_e32 v16, v24, v22
	v_sub_f32_e32 v17, v22, v24
	v_add_f32_e32 v22, v74, v0
	v_add_f32_e32 v19, v19, v1
	v_sub_f32_e32 v10, v18, v12
	v_add_f32_e32 v58, v8, v58
	v_add_f32_e32 v44, v8, v44
	;; [unrolled: 1-line block ×22, first 2 shown]
	v_sub_f32_e32 v20, v20, v26
	v_add_f32_e32 v11, v25, v23
	v_add_f32_e32 v19, v12, v14
	;; [unrolled: 1-line block ×3, first 2 shown]
	ds_read2_b64 v[12:15], v33 offset0:14 offset1:15
	v_sub_f32_e32 v18, v23, v25
	v_add_f32_e32 v36, v27, v21
	v_add_f32_e32 v19, v19, v24
	;; [unrolled: 1-line block ×3, first 2 shown]
	v_sub_f32_e32 v21, v21, v27
	s_waitcnt lgkmcnt(0)
	s_barrier
	v_add_f32_e32 v19, v19, v26
	v_add_f32_e32 v22, v22, v27
	buffer_gl0_inv
	v_sub_f32_e32 v25, v4, v14
	v_sub_f32_e32 v26, v5, v15
	v_add_f32_e32 v23, v14, v4
	v_add_f32_e32 v24, v15, v5
	;; [unrolled: 1-line block ×4, first 2 shown]
	v_sub_f32_e32 v6, v6, v12
	v_sub_f32_e32 v7, v7, v13
	v_add_f32_e32 v4, v19, v12
	v_add_f32_e32 v5, v22, v13
	v_mul_f32_e32 v12, 0xbf2c7751, v26
	v_mul_f32_e32 v13, 0xbf2c7751, v25
	;; [unrolled: 1-line block ×3, first 2 shown]
	v_add_f32_e32 v4, v4, v14
	v_add_f32_e32 v5, v5, v15
	v_fma_f32 v14, 0x3f3d2fb0, v23, -v12
	v_mul_f32_e32 v15, 0xbf7ee86f, v26
	v_fmamk_f32 v22, v24, 0x3f3d2fb0, v13
	v_fma_f32 v13, 0x3f3d2fb0, v24, -v13
	v_fmac_f32_e32 v12, 0x3f3d2fb0, v23
	v_add_f32_e32 v14, v14, v58
	v_mul_f32_e32 v58, 0xbf4c4adb, v26
	v_add_f32_e32 v22, v22, v37
	v_fma_f32 v37, 0x3dbcf732, v23, -v15
	v_add_f32_e32 v13, v13, v51
	v_fmamk_f32 v51, v24, 0x3dbcf732, v19
	v_fmac_f32_e32 v15, 0x3dbcf732, v23
	v_add_f32_e32 v12, v12, v44
	v_mul_f32_e32 v44, 0xbf4c4adb, v25
	v_add_f32_e32 v37, v37, v59
	v_mul_f32_e32 v59, 0xbe3c28d5, v26
	v_fma_f32 v19, 0x3dbcf732, v24, -v19
	v_add_f32_e32 v51, v51, v66
	v_mul_f32_e32 v66, 0xbe3c28d5, v25
	v_add_f32_e32 v15, v15, v45
	v_fma_f32 v45, 0xbf1a4643, v23, -v58
	v_fmac_f32_e32 v58, 0xbf1a4643, v23
	v_add_f32_e32 v19, v19, v52
	v_fmamk_f32 v52, v24, 0xbf1a4643, v44
	v_fma_f32 v44, 0xbf1a4643, v24, -v44
	v_add_f32_e32 v45, v45, v60
	v_fma_f32 v60, 0xbf7ba420, v23, -v59
	v_add_f32_e32 v46, v58, v46
	v_add_f32_e32 v5, v5, v30
	v_mul_f32_e32 v30, 0x3f06c442, v26
	v_fma_f32 v58, 0xbf7ba420, v24, -v66
	v_add_f32_e32 v44, v44, v53
	v_add_f32_e32 v53, v60, v61
	v_fmac_f32_e32 v59, 0xbf7ba420, v23
	v_fma_f32 v60, 0xbf59a7d5, v23, -v30
	v_mul_f32_e32 v61, 0x3f06c442, v25
	v_add_f32_e32 v54, v58, v54
	v_mul_f32_e32 v58, 0x3f763a35, v26
	v_add_f32_e32 v47, v59, v47
	v_add_f32_e32 v59, v60, v62
	v_fmamk_f32 v60, v24, 0xbf59a7d5, v61
	v_fmac_f32_e32 v30, 0xbf59a7d5, v23
	v_fma_f32 v61, 0xbf59a7d5, v24, -v61
	v_fma_f32 v62, 0xbe8c1d8e, v23, -v58
	v_fmac_f32_e32 v58, 0xbe8c1d8e, v23
	v_add_f32_e32 v52, v52, v67
	v_add_f32_e32 v30, v30, v48
	;; [unrolled: 1-line block ×4, first 2 shown]
	v_mul_f32_e32 v62, 0x3f65296c, v26
	v_mul_f32_e32 v63, 0x3f65296c, v25
	v_add_f32_e32 v4, v4, v29
	v_fmamk_f32 v29, v24, 0xbf7ba420, v66
	v_mul_f32_e32 v66, 0x3f763a35, v25
	v_add_f32_e32 v49, v58, v49
	v_fma_f32 v58, 0x3ee437d1, v23, -v62
	v_fmamk_f32 v67, v24, 0x3ee437d1, v63
	v_fmac_f32_e32 v62, 0x3ee437d1, v23
	v_mul_f32_e32 v26, 0x3eb8f4ab, v26
	v_mul_f32_e32 v25, 0x3eb8f4ab, v25
	v_fma_f32 v63, 0x3ee437d1, v24, -v63
	v_fmamk_f32 v61, v24, 0xbe8c1d8e, v66
	v_fma_f32 v66, 0xbe8c1d8e, v24, -v66
	v_add_f32_e32 v50, v62, v50
	v_fma_f32 v62, 0x3f6eb680, v23, -v26
	v_fmac_f32_e32 v26, 0x3f6eb680, v23
	v_fmamk_f32 v23, v24, 0x3f6eb680, v25
	v_fma_f32 v24, 0x3f6eb680, v24, -v25
	v_mul_f32_e32 v25, 0xbf65296c, v7
	v_add_f32_e32 v57, v63, v57
	v_mul_f32_e32 v63, 0xbf65296c, v6
	v_add_f32_e32 v56, v66, v56
	v_add_f32_e32 v62, v62, v65
	v_fma_f32 v65, 0x3ee437d1, v27, -v25
	v_add_f32_e32 v26, v26, v42
	v_fmamk_f32 v42, v74, 0x3ee437d1, v63
	v_mul_f32_e32 v66, 0xbf4c4adb, v7
	v_fmac_f32_e32 v25, 0x3ee437d1, v27
	v_add_f32_e32 v14, v65, v14
	v_fma_f32 v63, 0x3ee437d1, v74, -v63
	v_add_f32_e32 v22, v42, v22
	v_fma_f32 v42, 0xbf1a4643, v27, -v66
	v_mul_f32_e32 v65, 0xbf4c4adb, v6
	v_add_f32_e32 v12, v25, v12
	v_mul_f32_e32 v25, 0x3e3c28d5, v7
	v_add_f32_e32 v58, v58, v64
	v_add_f32_e32 v64, v67, v71
	;; [unrolled: 1-line block ×4, first 2 shown]
	v_fmamk_f32 v42, v74, 0xbf1a4643, v65
	v_fmac_f32_e32 v66, 0xbf1a4643, v27
	v_fma_f32 v63, 0xbf1a4643, v74, -v65
	v_fma_f32 v65, 0xbf7ba420, v27, -v25
	v_mul_f32_e32 v67, 0x3e3c28d5, v6
	v_add_f32_e32 v42, v42, v51
	v_add_f32_e32 v15, v66, v15
	v_add_f32_e32 v19, v63, v19
	v_add_f32_e32 v45, v65, v45
	v_fmamk_f32 v51, v74, 0xbf7ba420, v67
	v_mul_f32_e32 v63, 0x3f763a35, v7
	v_fmac_f32_e32 v25, 0xbf7ba420, v27
	v_fma_f32 v65, 0xbf7ba420, v74, -v67
	v_mul_f32_e32 v66, 0x3f763a35, v6
	v_add_f32_e32 v29, v29, v68
	v_add_f32_e32 v51, v51, v52
	v_fma_f32 v52, 0xbe8c1d8e, v27, -v63
	v_add_f32_e32 v25, v25, v46
	v_add_f32_e32 v44, v65, v44
	v_fmamk_f32 v46, v74, 0xbe8c1d8e, v66
	v_mul_f32_e32 v65, 0x3f2c7751, v7
	v_add_f32_e32 v52, v52, v53
	v_fmac_f32_e32 v63, 0xbe8c1d8e, v27
	v_fma_f32 v53, 0xbe8c1d8e, v74, -v66
	v_add_f32_e32 v29, v46, v29
	v_fma_f32 v46, 0x3f3d2fb0, v27, -v65
	v_mul_f32_e32 v66, 0x3f2c7751, v6
	v_add_f32_e32 v60, v60, v69
	v_add_f32_e32 v47, v63, v47
	;; [unrolled: 1-line block ×3, first 2 shown]
	v_mul_f32_e32 v54, 0xbeb8f4ab, v7
	v_add_f32_e32 v46, v46, v59
	v_fmamk_f32 v59, v74, 0x3f3d2fb0, v66
	v_fmac_f32_e32 v65, 0x3f3d2fb0, v27
	v_fma_f32 v63, 0x3f3d2fb0, v74, -v66
	v_mul_f32_e32 v67, 0xbeb8f4ab, v6
	v_add_f32_e32 v61, v61, v70
	v_fma_f32 v66, 0x3f6eb680, v27, -v54
	v_add_f32_e32 v59, v59, v60
	v_add_f32_e32 v30, v65, v30
	;; [unrolled: 1-line block ×3, first 2 shown]
	v_fmamk_f32 v60, v74, 0x3f6eb680, v67
	v_fmac_f32_e32 v54, 0x3f6eb680, v27
	v_mul_f32_e32 v63, 0xbf7ee86f, v7
	v_mul_f32_e32 v65, 0xbf7ee86f, v6
	;; [unrolled: 1-line block ×3, first 2 shown]
	v_add_f32_e32 v60, v60, v61
	v_add_f32_e32 v49, v54, v49
	v_fma_f32 v54, 0x3dbcf732, v27, -v63
	v_fmamk_f32 v61, v74, 0x3dbcf732, v65
	v_mul_f32_e32 v6, 0xbf06c442, v6
	v_add_f32_e32 v23, v23, v72
	v_fmac_f32_e32 v63, 0x3dbcf732, v27
	v_add_f32_e32 v54, v54, v58
	v_add_f32_e32 v58, v61, v64
	v_fma_f32 v61, 0xbf59a7d5, v27, -v7
	v_fmac_f32_e32 v7, 0xbf59a7d5, v27
	v_fmamk_f32 v27, v74, 0xbf59a7d5, v6
	v_mul_f32_e32 v64, 0xbf7ee86f, v21
	v_add_f32_e32 v24, v24, v73
	v_fma_f32 v6, 0xbf59a7d5, v74, -v6
	v_add_f32_e32 v61, v61, v62
	v_mul_f32_e32 v62, 0xbf7ee86f, v20
	v_add_f32_e32 v23, v27, v23
	v_fma_f32 v27, 0x3dbcf732, v35, -v64
	v_add_f32_e32 v7, v7, v26
	v_add_f32_e32 v6, v6, v24
	v_fmamk_f32 v24, v36, 0x3dbcf732, v62
	v_mul_f32_e32 v26, 0xbe3c28d5, v21
	v_add_f32_e32 v14, v27, v14
	v_fma_f32 v27, 0x3dbcf732, v36, -v62
	v_add_f32_e32 v50, v63, v50
	v_fma_f32 v63, 0x3dbcf732, v74, -v65
	v_fmac_f32_e32 v64, 0x3dbcf732, v35
	v_add_f32_e32 v22, v24, v22
	v_fma_f32 v24, 0xbf7ba420, v35, -v26
	v_mul_f32_e32 v62, 0xbe3c28d5, v20
	v_add_f32_e32 v13, v27, v13
	v_mul_f32_e32 v27, 0x3f763a35, v21
	v_add_f32_e32 v57, v63, v57
	v_add_f32_e32 v12, v64, v12
	;; [unrolled: 1-line block ×3, first 2 shown]
	v_fmamk_f32 v37, v36, 0xbf7ba420, v62
	v_fmac_f32_e32 v26, 0xbf7ba420, v35
	v_fma_f32 v63, 0xbe8c1d8e, v35, -v27
	v_mul_f32_e32 v64, 0x3f763a35, v20
	v_fma_f32 v62, 0xbf7ba420, v36, -v62
	v_add_f32_e32 v37, v37, v42
	v_add_f32_e32 v15, v26, v15
	v_add_f32_e32 v26, v63, v45
	v_fmamk_f32 v42, v36, 0xbe8c1d8e, v64
	v_mul_f32_e32 v45, 0x3eb8f4ab, v21
	v_add_f32_e32 v19, v62, v19
	v_fmac_f32_e32 v27, 0xbe8c1d8e, v35
	v_fma_f32 v62, 0xbe8c1d8e, v36, -v64
	v_mul_f32_e32 v63, 0x3eb8f4ab, v20
	v_add_f32_e32 v42, v42, v51
	v_fma_f32 v51, 0x3f6eb680, v35, -v45
	v_add_f32_e32 v25, v27, v25
	v_add_f32_e32 v27, v62, v44
	v_fmamk_f32 v44, v36, 0x3f6eb680, v63
	v_mul_f32_e32 v62, 0xbf65296c, v21
	v_add_f32_e32 v51, v51, v52
	v_fmac_f32_e32 v45, 0x3f6eb680, v35
	v_fma_f32 v52, 0x3f6eb680, v36, -v63
	v_add_f32_e32 v29, v44, v29
	v_fma_f32 v44, 0x3ee437d1, v35, -v62
	v_mul_f32_e32 v63, 0xbf65296c, v20
	v_add_f32_e32 v45, v45, v47
	v_add_f32_e32 v47, v52, v53
	v_mul_f32_e32 v52, 0xbf06c442, v21
	v_add_f32_e32 v55, v66, v55
	v_add_f32_e32 v44, v44, v46
	v_fmamk_f32 v46, v36, 0x3ee437d1, v63
	v_fmac_f32_e32 v62, 0x3ee437d1, v35
	v_fma_f32 v53, 0x3ee437d1, v36, -v63
	v_fma_f32 v63, 0xbf59a7d5, v35, -v52
	v_mul_f32_e32 v64, 0xbf06c442, v20
	v_add_f32_e32 v46, v46, v59
	v_add_f32_e32 v30, v62, v30
	;; [unrolled: 1-line block ×4, first 2 shown]
	v_fmamk_f32 v55, v36, 0xbf59a7d5, v64
	v_fmac_f32_e32 v52, 0xbf59a7d5, v35
	v_mul_f32_e32 v59, 0x3f4c4adb, v21
	v_mul_f32_e32 v62, 0x3f4c4adb, v20
	;; [unrolled: 1-line block ×3, first 2 shown]
	v_add_f32_e32 v55, v55, v60
	v_add_f32_e32 v49, v52, v49
	v_fma_f32 v52, 0xbf1a4643, v35, -v59
	v_fmamk_f32 v60, v36, 0xbf1a4643, v62
	v_fmac_f32_e32 v59, 0xbf1a4643, v35
	v_mul_f32_e32 v20, 0x3f2c7751, v20
	v_fma_f32 v63, 0xbf59a7d5, v36, -v64
	v_add_f32_e32 v52, v52, v54
	v_add_f32_e32 v54, v60, v58
	v_add_f32_e32 v50, v59, v50
	v_fma_f32 v58, 0x3f3d2fb0, v35, -v21
	v_fma_f32 v59, 0xbf1a4643, v36, -v62
	v_fmac_f32_e32 v21, 0x3f3d2fb0, v35
	v_fmamk_f32 v35, v36, 0x3f3d2fb0, v20
	v_fma_f32 v20, 0x3f3d2fb0, v36, -v20
	v_mul_f32_e32 v36, 0xbf763a35, v18
	v_add_f32_e32 v57, v59, v57
	v_mul_f32_e32 v59, 0xbf763a35, v17
	v_add_f32_e32 v23, v35, v23
	v_add_f32_e32 v7, v21, v7
	v_fma_f32 v35, 0xbe8c1d8e, v16, -v36
	v_add_f32_e32 v6, v20, v6
	v_fmamk_f32 v20, v11, 0xbe8c1d8e, v59
	v_mul_f32_e32 v21, 0x3f06c442, v18
	v_fmac_f32_e32 v36, 0xbe8c1d8e, v16
	v_add_f32_e32 v14, v35, v14
	v_fma_f32 v35, 0xbe8c1d8e, v11, -v59
	v_add_f32_e32 v20, v20, v22
	v_fma_f32 v22, 0xbf59a7d5, v16, -v21
	v_mul_f32_e32 v59, 0x3f06c442, v17
	v_add_f32_e32 v12, v36, v12
	v_add_f32_e32 v13, v35, v13
	v_mul_f32_e32 v35, 0x3f2c7751, v18
	v_add_f32_e32 v22, v22, v24
	v_fmamk_f32 v24, v11, 0xbf59a7d5, v59
	v_fmac_f32_e32 v21, 0xbf59a7d5, v16
	v_fma_f32 v36, 0xbf59a7d5, v11, -v59
	v_fma_f32 v59, 0x3f3d2fb0, v16, -v35
	v_mul_f32_e32 v60, 0x3f2c7751, v17
	v_add_f32_e32 v24, v24, v37
	v_add_f32_e32 v15, v21, v15
	;; [unrolled: 1-line block ×4, first 2 shown]
	v_fmamk_f32 v26, v11, 0x3f3d2fb0, v60
	v_mul_f32_e32 v36, 0xbf65296c, v18
	v_fmac_f32_e32 v35, 0x3f3d2fb0, v16
	v_fma_f32 v37, 0x3f3d2fb0, v11, -v60
	v_mul_f32_e32 v59, 0xbf65296c, v17
	v_add_f32_e32 v26, v26, v42
	v_fma_f32 v42, 0x3ee437d1, v16, -v36
	v_add_f32_e32 v25, v35, v25
	v_add_f32_e32 v27, v37, v27
	v_fmamk_f32 v35, v11, 0x3ee437d1, v59
	v_mul_f32_e32 v37, 0xbe3c28d5, v18
	v_add_f32_e32 v42, v42, v51
	v_fmac_f32_e32 v36, 0x3ee437d1, v16
	v_fma_f32 v51, 0x3ee437d1, v11, -v59
	v_add_f32_e32 v29, v35, v29
	v_fma_f32 v35, 0xbf7ba420, v16, -v37
	v_mul_f32_e32 v59, 0xbe3c28d5, v17
	v_add_f32_e32 v36, v36, v45
	v_add_f32_e32 v45, v51, v47
	v_mul_f32_e32 v47, 0x3f7ee86f, v18
	v_add_f32_e32 v35, v35, v44
	v_fmamk_f32 v44, v11, 0xbf7ba420, v59
	v_fmac_f32_e32 v37, 0xbf7ba420, v16
	v_fma_f32 v51, 0xbf7ba420, v11, -v59
	v_fma_f32 v59, 0x3dbcf732, v16, -v47
	v_mul_f32_e32 v60, 0x3f7ee86f, v17
	v_add_f32_e32 v44, v44, v46
	v_add_f32_e32 v30, v37, v30
	;; [unrolled: 1-line block ×4, first 2 shown]
	v_fmamk_f32 v48, v11, 0x3dbcf732, v60
	v_fmac_f32_e32 v47, 0x3dbcf732, v16
	v_mul_f32_e32 v51, 0xbeb8f4ab, v18
	v_mul_f32_e32 v53, 0xbeb8f4ab, v17
	;; [unrolled: 1-line block ×3, first 2 shown]
	v_add_f32_e32 v48, v48, v55
	v_add_f32_e32 v47, v47, v49
	v_fma_f32 v49, 0x3f6eb680, v16, -v51
	v_fmamk_f32 v55, v11, 0x3f6eb680, v53
	v_fmac_f32_e32 v51, 0x3f6eb680, v16
	v_mul_f32_e32 v17, 0xbf4c4adb, v17
	v_fma_f32 v59, 0x3dbcf732, v11, -v60
	v_add_f32_e32 v49, v49, v52
	v_add_f32_e32 v52, v55, v54
	v_add_f32_e32 v50, v51, v50
	v_fma_f32 v51, 0xbf1a4643, v16, -v18
	v_fma_f32 v53, 0x3f6eb680, v11, -v53
	v_fmac_f32_e32 v18, 0xbf1a4643, v16
	v_fmamk_f32 v16, v11, 0xbf1a4643, v17
	v_mul_f32_e32 v54, 0xbf4c4adb, v43
	v_fma_f32 v11, 0xbf1a4643, v11, -v17
	v_add_f32_e32 v17, v53, v57
	v_mul_f32_e32 v53, 0xbf4c4adb, v40
	v_add_f32_e32 v16, v16, v23
	v_fma_f32 v23, 0xbf1a4643, v39, -v54
	v_add_f32_e32 v6, v11, v6
	v_mul_f32_e32 v11, 0x3f763a35, v43
	v_add_f32_e32 v7, v18, v7
	v_fmamk_f32 v18, v38, 0xbf1a4643, v53
	v_add_f32_e32 v14, v23, v14
	v_fmac_f32_e32 v54, 0xbf1a4643, v39
	v_fma_f32 v23, 0xbf1a4643, v38, -v53
	v_fma_f32 v53, 0xbe8c1d8e, v39, -v11
	v_mul_f32_e32 v55, 0x3f763a35, v40
	v_add_f32_e32 v18, v18, v20
	v_add_f32_e32 v12, v54, v12
	;; [unrolled: 1-line block ×4, first 2 shown]
	v_fmamk_f32 v22, v38, 0xbe8c1d8e, v55
	v_mul_f32_e32 v23, 0xbeb8f4ab, v43
	v_fmac_f32_e32 v11, 0xbe8c1d8e, v39
	v_fma_f32 v53, 0xbe8c1d8e, v38, -v55
	v_mul_f32_e32 v54, 0xbeb8f4ab, v40
	v_add_f32_e32 v22, v22, v24
	v_fma_f32 v24, 0x3f6eb680, v39, -v23
	v_add_f32_e32 v11, v11, v15
	v_add_f32_e32 v15, v53, v19
	v_fmamk_f32 v19, v38, 0x3f6eb680, v54
	v_mul_f32_e32 v53, 0xbf06c442, v43
	v_fmac_f32_e32 v23, 0x3f6eb680, v39
	v_add_f32_e32 v21, v24, v21
	v_fma_f32 v24, 0x3f6eb680, v38, -v54
	v_add_f32_e32 v19, v19, v26
	v_fma_f32 v26, 0xbf59a7d5, v39, -v53
	v_mul_f32_e32 v54, 0xbf06c442, v40
	v_add_f32_e32 v23, v23, v25
	v_mul_f32_e32 v25, 0x3f7ee86f, v43
	v_add_f32_e32 v24, v24, v27
	v_add_f32_e32 v26, v26, v42
	v_fmamk_f32 v27, v38, 0xbf59a7d5, v54
	v_fmac_f32_e32 v53, 0xbf59a7d5, v39
	v_fma_f32 v42, 0xbf59a7d5, v38, -v54
	v_fma_f32 v54, 0x3dbcf732, v39, -v25
	v_mul_f32_e32 v55, 0x3f7ee86f, v40
	v_add_f32_e32 v27, v27, v29
	v_add_f32_e32 v29, v53, v36
	v_add_f32_e32 v36, v42, v45
	v_add_f32_e32 v35, v54, v35
	v_fmamk_f32 v42, v38, 0x3dbcf732, v55
	v_mul_f32_e32 v45, 0xbf2c7751, v43
	v_fmac_f32_e32 v25, 0x3dbcf732, v39
	v_fma_f32 v53, 0x3dbcf732, v38, -v55
	v_mul_f32_e32 v54, 0xbf2c7751, v40
	v_add_f32_e32 v42, v42, v44
	v_fma_f32 v44, 0x3f3d2fb0, v39, -v45
	v_add_f32_e32 v25, v25, v30
	v_add_f32_e32 v30, v53, v37
	v_fmamk_f32 v37, v38, 0x3f3d2fb0, v54
	v_mul_f32_e32 v53, 0xbe3c28d5, v43
	v_add_f32_e32 v58, v58, v61
	v_add_f32_e32 v44, v44, v46
	v_fmac_f32_e32 v45, 0x3f3d2fb0, v39
	v_fma_f32 v46, 0x3f3d2fb0, v38, -v54
	v_add_f32_e32 v37, v37, v48
	v_fma_f32 v48, 0xbf7ba420, v39, -v53
	v_mul_f32_e32 v54, 0xbe3c28d5, v40
	v_mul_f32_e32 v43, 0x3f65296c, v43
	v_add_f32_e32 v51, v51, v58
	v_add_f32_e32 v45, v45, v47
	;; [unrolled: 1-line block ×3, first 2 shown]
	v_fmamk_f32 v48, v38, 0xbf7ba420, v54
	v_fma_f32 v49, 0xbf7ba420, v38, -v54
	v_fma_f32 v54, 0x3ee437d1, v39, -v43
	v_mul_f32_e32 v40, 0x3f65296c, v40
	v_fmac_f32_e32 v53, 0xbf7ba420, v39
	v_fmac_f32_e32 v43, 0x3ee437d1, v39
	v_add_f32_e32 v17, v49, v17
	v_add_f32_e32 v49, v54, v51
	v_fmamk_f32 v51, v38, 0x3ee437d1, v40
	v_fma_f32 v38, 0x3ee437d1, v38, -v40
	v_mul_f32_e32 v40, 0xbf06c442, v10
	v_mul_f32_e32 v39, 0xbf06c442, v41
	v_add_f32_e32 v7, v43, v7
	v_add_f32_e32 v16, v51, v16
	;; [unrolled: 1-line block ×3, first 2 shown]
	v_fmamk_f32 v38, v9, 0xbf59a7d5, v40
	v_fma_f32 v51, 0xbf59a7d5, v8, -v39
	v_mul_f32_e32 v43, 0x3f65296c, v41
	v_fmac_f32_e32 v39, 0xbf59a7d5, v8
	v_fma_f32 v40, 0xbf59a7d5, v9, -v40
	v_add_f32_e32 v18, v38, v18
	v_mul_f32_e32 v38, 0x3f65296c, v10
	v_add_f32_e32 v14, v51, v14
	v_fma_f32 v51, 0x3ee437d1, v8, -v43
	v_add_f32_e32 v12, v39, v12
	v_add_f32_e32 v13, v40, v13
	v_mul_f32_e32 v39, 0xbf7ee86f, v41
	v_fmamk_f32 v40, v9, 0x3ee437d1, v38
	v_add_f32_e32 v20, v51, v20
	v_fmac_f32_e32 v43, 0x3ee437d1, v8
	v_fma_f32 v38, 0x3ee437d1, v9, -v38
	v_fma_f32 v51, 0x3dbcf732, v8, -v39
	v_add_f32_e32 v22, v40, v22
	v_mul_f32_e32 v40, 0xbf7ee86f, v10
	v_add_f32_e32 v11, v43, v11
	v_add_f32_e32 v15, v38, v15
	;; [unrolled: 1-line block ×3, first 2 shown]
	v_mul_f32_e32 v43, 0x3f4c4adb, v41
	v_fmamk_f32 v38, v9, 0x3dbcf732, v40
	v_fmac_f32_e32 v39, 0x3dbcf732, v8
	v_mul_f32_e32 v51, 0x3f4c4adb, v10
	v_fma_f32 v40, 0x3dbcf732, v9, -v40
	v_fma_f32 v66, 0x3f6eb680, v74, -v67
	v_add_f32_e32 v19, v38, v19
	v_fma_f32 v38, 0xbf1a4643, v8, -v43
	v_add_f32_e32 v23, v39, v23
	v_fmamk_f32 v39, v9, 0xbf1a4643, v51
	v_add_f32_e32 v24, v40, v24
	v_mul_f32_e32 v40, 0xbeb8f4ab, v41
	v_add_f32_e32 v26, v38, v26
	v_fmac_f32_e32 v43, 0xbf1a4643, v8
	v_fma_f32 v38, 0xbf1a4643, v9, -v51
	v_add_f32_e32 v27, v39, v27
	v_mul_f32_e32 v39, 0xbeb8f4ab, v10
	v_fma_f32 v51, 0x3f6eb680, v8, -v40
	v_add_f32_e32 v29, v43, v29
	v_add_f32_e32 v36, v38, v36
	v_mul_f32_e32 v38, 0xbe3c28d5, v41
	v_fmamk_f32 v43, v9, 0x3f6eb680, v39
	v_add_f32_e32 v56, v66, v56
	v_add_f32_e32 v35, v51, v35
	v_fmac_f32_e32 v40, 0x3f6eb680, v8
	v_fma_f32 v39, 0x3f6eb680, v9, -v39
	v_fma_f32 v51, 0xbf7ba420, v8, -v38
	v_add_f32_e32 v42, v43, v42
	v_mul_f32_e32 v43, 0xbe3c28d5, v10
	v_add_f32_e32 v56, v63, v56
	v_add_f32_e32 v25, v40, v25
	;; [unrolled: 1-line block ×4, first 2 shown]
	v_fmamk_f32 v40, v9, 0xbf7ba420, v43
	v_mul_f32_e32 v44, 0x3f2c7751, v41
	v_fmac_f32_e32 v38, 0xbf7ba420, v8
	v_mul_f32_e32 v51, 0x3f2c7751, v10
	v_add_f32_e32 v56, v59, v56
	v_add_f32_e32 v48, v48, v52
	;; [unrolled: 1-line block ×3, first 2 shown]
	v_fma_f32 v40, 0x3f3d2fb0, v8, -v44
	v_add_f32_e32 v38, v38, v45
	v_fmamk_f32 v45, v9, 0x3f3d2fb0, v51
	v_mul_f32_e32 v41, 0xbf763a35, v41
	v_add_f32_e32 v46, v46, v56
	v_add_f32_e32 v50, v53, v50
	v_fma_f32 v43, 0xbf7ba420, v9, -v43
	v_add_f32_e32 v40, v40, v47
	v_fmac_f32_e32 v44, 0x3f3d2fb0, v8
	v_add_f32_e32 v45, v45, v48
	v_fma_f32 v47, 0xbe8c1d8e, v8, -v41
	v_sub_f32_e32 v48, v1, v3
	v_add_f32_e32 v43, v43, v46
	v_fma_f32 v46, 0x3f3d2fb0, v9, -v51
	v_mul_f32_e32 v10, 0xbf763a35, v10
	v_add_f32_e32 v44, v44, v50
	v_add_f32_e32 v47, v47, v49
	v_add_f32_e32 v49, v2, v0
	v_mul_f32_e32 v50, 0xbe3c28d5, v48
	v_sub_f32_e32 v51, v0, v2
	v_fmac_f32_e32 v41, 0xbe8c1d8e, v8
	v_fma_f32 v0, 0xbe8c1d8e, v9, -v10
	v_add_f32_e32 v52, v3, v1
	v_fma_f32 v1, 0xbf7ba420, v49, -v50
	v_mul_f32_e32 v2, 0xbe3c28d5, v51
	v_mul_f32_e32 v8, 0x3eb8f4ab, v48
	v_fmac_f32_e32 v50, 0xbf7ba420, v49
	v_add_f32_e32 v46, v46, v17
	v_fmamk_f32 v17, v9, 0xbe8c1d8e, v10
	v_add_f32_e32 v41, v41, v7
	v_add_f32_e32 v54, v0, v6
	;; [unrolled: 1-line block ×3, first 2 shown]
	v_fmamk_f32 v1, v52, 0xbf7ba420, v2
	v_fma_f32 v3, 0xbf7ba420, v52, -v2
	v_mul_f32_e32 v7, 0x3eb8f4ab, v51
	v_fma_f32 v6, 0x3f6eb680, v49, -v8
	v_add_f32_e32 v2, v50, v12
	v_mul_f32_e32 v12, 0xbf06c442, v48
	v_fmac_f32_e32 v8, 0x3f6eb680, v49
	v_mul_f32_e32 v14, 0xbf06c442, v51
	v_add_f32_e32 v53, v17, v16
	v_add_f32_e32 v3, v3, v13
	v_fmamk_f32 v9, v52, 0x3f6eb680, v7
	v_fma_f32 v10, 0x3f6eb680, v52, -v7
	v_fma_f32 v13, 0xbf59a7d5, v49, -v12
	v_add_f32_e32 v8, v8, v11
	v_mul_f32_e32 v16, 0x3f2c7751, v48
	v_fmamk_f32 v11, v52, 0xbf59a7d5, v14
	v_add_f32_e32 v6, v6, v20
	v_add_f32_e32 v7, v9, v22
	;; [unrolled: 1-line block ×4, first 2 shown]
	v_fmac_f32_e32 v12, 0xbf59a7d5, v49
	v_fma_f32 v13, 0xbf59a7d5, v52, -v14
	v_fma_f32 v14, 0x3f3d2fb0, v49, -v16
	v_mul_f32_e32 v15, 0x3f2c7751, v51
	v_add_f32_e32 v11, v11, v19
	v_mul_f32_e32 v20, 0xbf4c4adb, v48
	v_fmac_f32_e32 v16, 0x3f3d2fb0, v49
	v_mul_f32_e32 v19, 0xbf4c4adb, v51
	v_add_f32_e32 v1, v1, v18
	v_add_f32_e32 v12, v12, v23
	;; [unrolled: 1-line block ×3, first 2 shown]
	v_fmamk_f32 v17, v52, 0x3f3d2fb0, v15
	v_fma_f32 v18, 0x3f3d2fb0, v52, -v15
	v_fma_f32 v21, 0xbf1a4643, v49, -v20
	v_add_f32_e32 v16, v16, v29
	v_fmamk_f32 v22, v52, 0xbf1a4643, v19
	v_mul_f32_e32 v24, 0x3f65296c, v48
	v_fmac_f32_e32 v20, 0xbf1a4643, v49
	v_mul_f32_e32 v23, 0x3f65296c, v51
	v_mul_f32_e32 v29, 0xbf763a35, v48
	v_add_f32_e32 v14, v14, v26
	v_add_f32_e32 v15, v17, v27
	;; [unrolled: 1-line block ×4, first 2 shown]
	v_fma_f32 v21, 0xbf1a4643, v52, -v19
	v_add_f32_e32 v19, v22, v42
	v_fma_f32 v22, 0x3ee437d1, v49, -v24
	v_add_f32_e32 v20, v20, v25
	v_fmamk_f32 v25, v52, 0x3ee437d1, v23
	v_fma_f32 v26, 0x3ee437d1, v52, -v23
	v_fma_f32 v27, 0xbe8c1d8e, v49, -v29
	v_add_f32_e32 v22, v22, v39
	v_add_f32_e32 v21, v21, v30
	;; [unrolled: 1-line block ×5, first 2 shown]
	v_mad_u64_u32 v[39:40], null, s4, v34, 0
	v_mul_f32_e32 v30, 0xbf763a35, v51
	ds_write2_b64 v33, v[4:5], v[0:1] offset1:1
	ds_write2_b64 v33, v[6:7], v[10:11] offset0:2 offset1:3
	ds_write2_b64 v33, v[14:15], v[18:19] offset0:4 offset1:5
	v_fmac_f32_e32 v24, 0x3ee437d1, v49
	v_mul_f32_e32 v37, 0x3f7ee86f, v48
	v_mul_f32_e32 v36, 0x3f7ee86f, v51
	v_fmamk_f32 v27, v52, 0xbe8c1d8e, v30
	v_mov_b32_e32 v0, v40
	v_add_f32_e32 v24, v24, v38
	v_fma_f32 v35, 0x3dbcf732, v49, -v37
	v_fmamk_f32 v38, v52, 0x3dbcf732, v36
	v_fmac_f32_e32 v37, 0x3dbcf732, v49
	v_mad_u64_u32 v[0:1], null, s5, v34, v[0:1]
	v_fma_f32 v42, 0x3dbcf732, v52, -v36
	v_fmac_f32_e32 v29, 0xbe8c1d8e, v49
	v_fma_f32 v30, 0xbe8c1d8e, v52, -v30
	v_add_f32_e32 v27, v27, v45
	v_add_f32_e32 v35, v35, v47
	;; [unrolled: 1-line block ×7, first 2 shown]
	v_mov_b32_e32 v40, v0
	ds_write2_b64 v33, v[22:23], v[26:27] offset0:6 offset1:7
	ds_write2_b64 v33, v[35:36], v[37:38] offset0:8 offset1:9
	;; [unrolled: 1-line block ×3, first 2 shown]
	v_mul_lo_u32 v27, s0, v32
	s_lshl_b64 s[4:5], s[6:7], 3
	v_lshlrev_b64 v[0:1], 3, v[39:40]
	s_add_u32 s1, s2, s4
	s_addc_u32 s4, s3, s5
	s_lshl_b64 s[2:3], s[10:11], 3
	v_lshlrev_b32_e32 v4, 3, v32
	s_add_u32 s1, s1, s2
	ds_write2_b64 v33, v[20:21], v[16:17] offset0:12 offset1:13
	ds_write2_b64 v33, v[12:13], v[8:9] offset0:14 offset1:15
	ds_write_b64 v33, v[2:3] offset:128
	v_lshlrev_b64 v[2:3], 3, v[27:28]
	s_addc_u32 s2, s4, s3
	v_add_co_u32 v20, vcc_lo, s1, v0
	v_add_nc_u32_e32 v5, v33, v4
	v_add_nc_u32_e32 v27, s0, v27
	v_add_co_ci_u32_e32 v21, vcc_lo, s2, v1, vcc_lo
	v_add3_u32 v18, 0, v4, v31
	v_add_co_u32 v10, vcc_lo, v20, v2
	s_waitcnt lgkmcnt(0)
	s_barrier
	buffer_gl0_inv
	v_lshlrev_b64 v[8:9], 3, v[27:28]
	v_add_nc_u32_e32 v27, s0, v27
	v_add_co_ci_u32_e32 v11, vcc_lo, v21, v3, vcc_lo
	ds_read2_b64 v[0:3], v5 offset1:1
	ds_read2_b64 v[4:7], v18 offset0:2 offset1:3
	v_lshlrev_b64 v[12:13], 3, v[27:28]
	v_add_nc_u32_e32 v27, s0, v27
	v_add_co_u32 v8, vcc_lo, v20, v8
	v_add_co_ci_u32_e32 v9, vcc_lo, v21, v9, vcc_lo
	v_lshlrev_b64 v[14:15], 3, v[27:28]
	v_add_nc_u32_e32 v27, s0, v27
	v_add_co_u32 v12, vcc_lo, v20, v12
	v_add_co_ci_u32_e32 v13, vcc_lo, v21, v13, vcc_lo
	v_add_co_u32 v14, vcc_lo, v20, v14
	v_lshlrev_b64 v[16:17], 3, v[27:28]
	v_add_nc_u32_e32 v27, s0, v27
	v_add_co_ci_u32_e32 v15, vcc_lo, v21, v15, vcc_lo
	s_waitcnt lgkmcnt(1)
	global_store_dwordx2 v[10:11], v[0:1], off
	global_store_dwordx2 v[8:9], v[2:3], off
	s_waitcnt lgkmcnt(0)
	global_store_dwordx2 v[12:13], v[4:5], off
	global_store_dwordx2 v[14:15], v[6:7], off
	ds_read2_b64 v[0:3], v18 offset0:4 offset1:5
	ds_read2_b64 v[4:7], v18 offset0:6 offset1:7
	v_lshlrev_b64 v[8:9], 3, v[27:28]
	v_add_nc_u32_e32 v27, s0, v27
	v_add_co_u32 v10, vcc_lo, v20, v16
	v_add_co_ci_u32_e32 v11, vcc_lo, v21, v17, vcc_lo
	v_lshlrev_b64 v[12:13], 3, v[27:28]
	v_add_nc_u32_e32 v27, s0, v27
	v_add_co_u32 v8, vcc_lo, v20, v8
	v_add_co_ci_u32_e32 v9, vcc_lo, v21, v9, vcc_lo
	;; [unrolled: 4-line block ×3, first 2 shown]
	v_add_co_u32 v14, vcc_lo, v20, v14
	v_lshlrev_b64 v[16:17], 3, v[27:28]
	v_add_nc_u32_e32 v27, s0, v27
	v_add_co_ci_u32_e32 v15, vcc_lo, v21, v15, vcc_lo
	s_waitcnt lgkmcnt(1)
	global_store_dwordx2 v[10:11], v[0:1], off
	global_store_dwordx2 v[8:9], v[2:3], off
	s_waitcnt lgkmcnt(0)
	global_store_dwordx2 v[12:13], v[4:5], off
	global_store_dwordx2 v[14:15], v[6:7], off
	ds_read2_b64 v[0:3], v18 offset0:8 offset1:9
	ds_read2_b64 v[4:7], v18 offset0:10 offset1:11
	v_lshlrev_b64 v[8:9], 3, v[27:28]
	v_add_nc_u32_e32 v27, s0, v27
	v_add_co_u32 v10, vcc_lo, v20, v16
	v_add_co_ci_u32_e32 v11, vcc_lo, v21, v17, vcc_lo
	v_lshlrev_b64 v[12:13], 3, v[27:28]
	v_add_nc_u32_e32 v27, s0, v27
	v_add_co_u32 v8, vcc_lo, v20, v8
	v_add_co_ci_u32_e32 v9, vcc_lo, v21, v9, vcc_lo
	;; [unrolled: 4-line block ×4, first 2 shown]
	s_waitcnt lgkmcnt(1)
	global_store_dwordx2 v[10:11], v[0:1], off
	global_store_dwordx2 v[8:9], v[2:3], off
	s_waitcnt lgkmcnt(0)
	global_store_dwordx2 v[12:13], v[4:5], off
	global_store_dwordx2 v[14:15], v[6:7], off
	v_lshlrev_b64 v[8:9], 3, v[27:28]
	v_add_nc_u32_e32 v27, s0, v27
	ds_read2_b64 v[0:3], v18 offset0:12 offset1:13
	ds_read2_b64 v[4:7], v18 offset0:14 offset1:15
	v_add_co_u32 v10, vcc_lo, v20, v16
	ds_read_b64 v[14:15], v18 offset:128
	v_lshlrev_b64 v[12:13], 3, v[27:28]
	v_add_nc_u32_e32 v27, s0, v27
	v_add_co_ci_u32_e32 v11, vcc_lo, v21, v17, vcc_lo
	v_add_co_u32 v8, vcc_lo, v20, v8
	v_lshlrev_b64 v[16:17], 3, v[27:28]
	v_add_nc_u32_e32 v27, s0, v27
	v_add_co_ci_u32_e32 v9, vcc_lo, v21, v9, vcc_lo
	v_add_co_u32 v12, vcc_lo, v20, v12
	v_lshlrev_b64 v[18:19], 3, v[27:28]
	v_add_co_ci_u32_e32 v13, vcc_lo, v21, v13, vcc_lo
	v_add_co_u32 v16, vcc_lo, v20, v16
	v_add_co_ci_u32_e32 v17, vcc_lo, v21, v17, vcc_lo
	v_add_co_u32 v18, vcc_lo, v20, v18
	v_add_co_ci_u32_e32 v19, vcc_lo, v21, v19, vcc_lo
	s_waitcnt lgkmcnt(2)
	global_store_dwordx2 v[10:11], v[0:1], off
	global_store_dwordx2 v[8:9], v[2:3], off
	s_waitcnt lgkmcnt(1)
	global_store_dwordx2 v[12:13], v[4:5], off
	global_store_dwordx2 v[16:17], v[6:7], off
	s_waitcnt lgkmcnt(0)
	global_store_dwordx2 v[18:19], v[14:15], off
	s_endpgm
	.section	.rodata,"a",@progbits
	.p2align	6, 0x0
	.amdhsa_kernel fft_rtc_fwd_len17_factors_17_wgs_120_tpt_1_sp_op_CI_CI_sbrc_z_xy_diag
		.amdhsa_group_segment_fixed_size 0
		.amdhsa_private_segment_fixed_size 0
		.amdhsa_kernarg_size 104
		.amdhsa_user_sgpr_count 6
		.amdhsa_user_sgpr_private_segment_buffer 1
		.amdhsa_user_sgpr_dispatch_ptr 0
		.amdhsa_user_sgpr_queue_ptr 0
		.amdhsa_user_sgpr_kernarg_segment_ptr 1
		.amdhsa_user_sgpr_dispatch_id 0
		.amdhsa_user_sgpr_flat_scratch_init 0
		.amdhsa_user_sgpr_private_segment_size 0
		.amdhsa_wavefront_size32 1
		.amdhsa_uses_dynamic_stack 0
		.amdhsa_system_sgpr_private_segment_wavefront_offset 0
		.amdhsa_system_sgpr_workgroup_id_x 1
		.amdhsa_system_sgpr_workgroup_id_y 0
		.amdhsa_system_sgpr_workgroup_id_z 0
		.amdhsa_system_sgpr_workgroup_info 0
		.amdhsa_system_vgpr_workitem_id 0
		.amdhsa_next_free_vgpr 75
		.amdhsa_next_free_sgpr 21
		.amdhsa_reserve_vcc 1
		.amdhsa_reserve_flat_scratch 0
		.amdhsa_float_round_mode_32 0
		.amdhsa_float_round_mode_16_64 0
		.amdhsa_float_denorm_mode_32 3
		.amdhsa_float_denorm_mode_16_64 3
		.amdhsa_dx10_clamp 1
		.amdhsa_ieee_mode 1
		.amdhsa_fp16_overflow 0
		.amdhsa_workgroup_processor_mode 1
		.amdhsa_memory_ordered 1
		.amdhsa_forward_progress 0
		.amdhsa_shared_vgpr_count 0
		.amdhsa_exception_fp_ieee_invalid_op 0
		.amdhsa_exception_fp_denorm_src 0
		.amdhsa_exception_fp_ieee_div_zero 0
		.amdhsa_exception_fp_ieee_overflow 0
		.amdhsa_exception_fp_ieee_underflow 0
		.amdhsa_exception_fp_ieee_inexact 0
		.amdhsa_exception_int_div_zero 0
	.end_amdhsa_kernel
	.text
.Lfunc_end0:
	.size	fft_rtc_fwd_len17_factors_17_wgs_120_tpt_1_sp_op_CI_CI_sbrc_z_xy_diag, .Lfunc_end0-fft_rtc_fwd_len17_factors_17_wgs_120_tpt_1_sp_op_CI_CI_sbrc_z_xy_diag
                                        ; -- End function
	.section	.AMDGPU.csdata,"",@progbits
; Kernel info:
; codeLenInByte = 8452
; NumSgprs: 23
; NumVgprs: 75
; ScratchSize: 0
; MemoryBound: 0
; FloatMode: 240
; IeeeMode: 1
; LDSByteSize: 0 bytes/workgroup (compile time only)
; SGPRBlocks: 2
; VGPRBlocks: 9
; NumSGPRsForWavesPerEU: 23
; NumVGPRsForWavesPerEU: 75
; Occupancy: 12
; WaveLimiterHint : 1
; COMPUTE_PGM_RSRC2:SCRATCH_EN: 0
; COMPUTE_PGM_RSRC2:USER_SGPR: 6
; COMPUTE_PGM_RSRC2:TRAP_HANDLER: 0
; COMPUTE_PGM_RSRC2:TGID_X_EN: 1
; COMPUTE_PGM_RSRC2:TGID_Y_EN: 0
; COMPUTE_PGM_RSRC2:TGID_Z_EN: 0
; COMPUTE_PGM_RSRC2:TIDIG_COMP_CNT: 0
	.text
	.p2alignl 6, 3214868480
	.fill 48, 4, 3214868480
	.type	__hip_cuid_6c9bd369be6e4e3d,@object ; @__hip_cuid_6c9bd369be6e4e3d
	.section	.bss,"aw",@nobits
	.globl	__hip_cuid_6c9bd369be6e4e3d
__hip_cuid_6c9bd369be6e4e3d:
	.byte	0                               ; 0x0
	.size	__hip_cuid_6c9bd369be6e4e3d, 1

	.ident	"AMD clang version 19.0.0git (https://github.com/RadeonOpenCompute/llvm-project roc-6.4.0 25133 c7fe45cf4b819c5991fe208aaa96edf142730f1d)"
	.section	".note.GNU-stack","",@progbits
	.addrsig
	.addrsig_sym __hip_cuid_6c9bd369be6e4e3d
	.amdgpu_metadata
---
amdhsa.kernels:
  - .args:
      - .actual_access:  read_only
        .address_space:  global
        .offset:         0
        .size:           8
        .value_kind:     global_buffer
      - .offset:         8
        .size:           8
        .value_kind:     by_value
      - .actual_access:  read_only
        .address_space:  global
        .offset:         16
        .size:           8
        .value_kind:     global_buffer
      - .actual_access:  read_only
        .address_space:  global
        .offset:         24
        .size:           8
        .value_kind:     global_buffer
      - .actual_access:  read_only
        .address_space:  global
        .offset:         32
        .size:           8
        .value_kind:     global_buffer
      - .offset:         40
        .size:           8
        .value_kind:     by_value
      - .actual_access:  read_only
        .address_space:  global
        .offset:         48
        .size:           8
        .value_kind:     global_buffer
      - .actual_access:  read_only
        .address_space:  global
        .offset:         56
        .size:           8
        .value_kind:     global_buffer
      - .offset:         64
        .size:           4
        .value_kind:     by_value
      - .actual_access:  read_only
        .address_space:  global
        .offset:         72
        .size:           8
        .value_kind:     global_buffer
      - .actual_access:  read_only
        .address_space:  global
        .offset:         80
        .size:           8
        .value_kind:     global_buffer
      - .actual_access:  read_only
        .address_space:  global
        .offset:         88
        .size:           8
        .value_kind:     global_buffer
      - .actual_access:  write_only
        .address_space:  global
        .offset:         96
        .size:           8
        .value_kind:     global_buffer
    .group_segment_fixed_size: 0
    .kernarg_segment_align: 8
    .kernarg_segment_size: 104
    .language:       OpenCL C
    .language_version:
      - 2
      - 0
    .max_flat_workgroup_size: 120
    .name:           fft_rtc_fwd_len17_factors_17_wgs_120_tpt_1_sp_op_CI_CI_sbrc_z_xy_diag
    .private_segment_fixed_size: 0
    .sgpr_count:     23
    .sgpr_spill_count: 0
    .symbol:         fft_rtc_fwd_len17_factors_17_wgs_120_tpt_1_sp_op_CI_CI_sbrc_z_xy_diag.kd
    .uniform_work_group_size: 1
    .uses_dynamic_stack: false
    .vgpr_count:     75
    .vgpr_spill_count: 0
    .wavefront_size: 32
    .workgroup_processor_mode: 1
amdhsa.target:   amdgcn-amd-amdhsa--gfx1030
amdhsa.version:
  - 1
  - 2
...

	.end_amdgpu_metadata
